;; amdgpu-corpus repo=ROCm/rocFFT kind=compiled arch=gfx906 opt=O3
	.text
	.amdgcn_target "amdgcn-amd-amdhsa--gfx906"
	.amdhsa_code_object_version 6
	.protected	fft_rtc_back_len1232_factors_2_2_2_2_11_7_wgs_176_tpt_176_halfLds_half_op_CI_CI_unitstride_sbrr_dirReg ; -- Begin function fft_rtc_back_len1232_factors_2_2_2_2_11_7_wgs_176_tpt_176_halfLds_half_op_CI_CI_unitstride_sbrr_dirReg
	.globl	fft_rtc_back_len1232_factors_2_2_2_2_11_7_wgs_176_tpt_176_halfLds_half_op_CI_CI_unitstride_sbrr_dirReg
	.p2align	8
	.type	fft_rtc_back_len1232_factors_2_2_2_2_11_7_wgs_176_tpt_176_halfLds_half_op_CI_CI_unitstride_sbrr_dirReg,@function
fft_rtc_back_len1232_factors_2_2_2_2_11_7_wgs_176_tpt_176_halfLds_half_op_CI_CI_unitstride_sbrr_dirReg: ; @fft_rtc_back_len1232_factors_2_2_2_2_11_7_wgs_176_tpt_176_halfLds_half_op_CI_CI_unitstride_sbrr_dirReg
; %bb.0:
	s_load_dwordx4 s[8:11], s[4:5], 0x58
	s_load_dwordx4 s[12:15], s[4:5], 0x0
	;; [unrolled: 1-line block ×3, first 2 shown]
	v_mul_u32_u24_e32 v1, 0x175, v0
	v_mov_b32_e32 v8, 0
	v_mov_b32_e32 v6, 0
	s_waitcnt lgkmcnt(0)
	v_cmp_lt_u64_e64 s[0:1], s[14:15], 2
	v_add_u32_sdwa v10, s6, v1 dst_sel:DWORD dst_unused:UNUSED_PAD src0_sel:DWORD src1_sel:WORD_1
	v_mov_b32_e32 v11, v8
	s_and_b64 vcc, exec, s[0:1]
	v_mov_b32_e32 v7, 0
	s_cbranch_vccnz .LBB0_8
; %bb.1:
	s_load_dwordx2 s[0:1], s[4:5], 0x10
	s_add_u32 s2, s18, 8
	s_addc_u32 s3, s19, 0
	s_add_u32 s6, s16, 8
	s_addc_u32 s7, s17, 0
	v_mov_b32_e32 v6, 0
	s_waitcnt lgkmcnt(0)
	s_add_u32 s20, s0, 8
	v_mov_b32_e32 v7, 0
	v_mov_b32_e32 v1, v6
	s_addc_u32 s21, s1, 0
	s_mov_b64 s[22:23], 1
	v_mov_b32_e32 v2, v7
.LBB0_2:                                ; =>This Inner Loop Header: Depth=1
	s_load_dwordx2 s[24:25], s[20:21], 0x0
                                        ; implicit-def: $vgpr3_vgpr4
	s_waitcnt lgkmcnt(0)
	v_or_b32_e32 v9, s25, v11
	v_cmp_ne_u64_e32 vcc, 0, v[8:9]
	s_and_saveexec_b64 s[0:1], vcc
	s_xor_b64 s[26:27], exec, s[0:1]
	s_cbranch_execz .LBB0_4
; %bb.3:                                ;   in Loop: Header=BB0_2 Depth=1
	v_cvt_f32_u32_e32 v3, s24
	v_cvt_f32_u32_e32 v4, s25
	s_sub_u32 s0, 0, s24
	s_subb_u32 s1, 0, s25
	v_mac_f32_e32 v3, 0x4f800000, v4
	v_rcp_f32_e32 v3, v3
	v_mul_f32_e32 v3, 0x5f7ffffc, v3
	v_mul_f32_e32 v4, 0x2f800000, v3
	v_trunc_f32_e32 v4, v4
	v_mac_f32_e32 v3, 0xcf800000, v4
	v_cvt_u32_f32_e32 v4, v4
	v_cvt_u32_f32_e32 v3, v3
	v_mul_lo_u32 v5, s0, v4
	v_mul_hi_u32 v9, s0, v3
	v_mul_lo_u32 v13, s1, v3
	v_mul_lo_u32 v12, s0, v3
	v_add_u32_e32 v5, v9, v5
	v_add_u32_e32 v5, v5, v13
	v_mul_hi_u32 v9, v3, v12
	v_mul_lo_u32 v13, v3, v5
	v_mul_hi_u32 v15, v3, v5
	v_mul_hi_u32 v14, v4, v12
	v_mul_lo_u32 v12, v4, v12
	v_mul_hi_u32 v16, v4, v5
	v_add_co_u32_e32 v9, vcc, v9, v13
	v_addc_co_u32_e32 v13, vcc, 0, v15, vcc
	v_mul_lo_u32 v5, v4, v5
	v_add_co_u32_e32 v9, vcc, v9, v12
	v_addc_co_u32_e32 v9, vcc, v13, v14, vcc
	v_addc_co_u32_e32 v12, vcc, 0, v16, vcc
	v_add_co_u32_e32 v5, vcc, v9, v5
	v_addc_co_u32_e32 v9, vcc, 0, v12, vcc
	v_add_co_u32_e32 v3, vcc, v3, v5
	v_addc_co_u32_e32 v4, vcc, v4, v9, vcc
	v_mul_lo_u32 v5, s0, v4
	v_mul_hi_u32 v9, s0, v3
	v_mul_lo_u32 v12, s1, v3
	v_mul_lo_u32 v13, s0, v3
	v_add_u32_e32 v5, v9, v5
	v_add_u32_e32 v5, v5, v12
	v_mul_lo_u32 v14, v3, v5
	v_mul_hi_u32 v15, v3, v13
	v_mul_hi_u32 v16, v3, v5
	v_mul_hi_u32 v12, v4, v13
	v_mul_lo_u32 v13, v4, v13
	v_mul_hi_u32 v9, v4, v5
	v_add_co_u32_e32 v14, vcc, v15, v14
	v_addc_co_u32_e32 v15, vcc, 0, v16, vcc
	v_mul_lo_u32 v5, v4, v5
	v_add_co_u32_e32 v13, vcc, v14, v13
	v_addc_co_u32_e32 v12, vcc, v15, v12, vcc
	v_addc_co_u32_e32 v9, vcc, 0, v9, vcc
	v_add_co_u32_e32 v5, vcc, v12, v5
	v_addc_co_u32_e32 v9, vcc, 0, v9, vcc
	v_add_co_u32_e32 v5, vcc, v3, v5
	v_addc_co_u32_e32 v9, vcc, v4, v9, vcc
	v_mad_u64_u32 v[3:4], s[0:1], v10, v9, 0
	v_mul_hi_u32 v12, v10, v5
	v_add_co_u32_e32 v14, vcc, v12, v3
	v_addc_co_u32_e32 v15, vcc, 0, v4, vcc
	v_mad_u64_u32 v[3:4], s[0:1], v11, v5, 0
	v_mad_u64_u32 v[12:13], s[0:1], v11, v9, 0
	v_add_co_u32_e32 v3, vcc, v14, v3
	v_addc_co_u32_e32 v3, vcc, v15, v4, vcc
	v_addc_co_u32_e32 v4, vcc, 0, v13, vcc
	v_add_co_u32_e32 v5, vcc, v3, v12
	v_addc_co_u32_e32 v9, vcc, 0, v4, vcc
	v_mul_lo_u32 v12, s25, v5
	v_mul_lo_u32 v13, s24, v9
	v_mad_u64_u32 v[3:4], s[0:1], s24, v5, 0
	v_add3_u32 v4, v4, v13, v12
	v_sub_u32_e32 v12, v11, v4
	v_mov_b32_e32 v13, s25
	v_sub_co_u32_e32 v3, vcc, v10, v3
	v_subb_co_u32_e64 v12, s[0:1], v12, v13, vcc
	v_subrev_co_u32_e64 v13, s[0:1], s24, v3
	v_subbrev_co_u32_e64 v12, s[0:1], 0, v12, s[0:1]
	v_cmp_le_u32_e64 s[0:1], s25, v12
	v_cndmask_b32_e64 v14, 0, -1, s[0:1]
	v_cmp_le_u32_e64 s[0:1], s24, v13
	v_cndmask_b32_e64 v13, 0, -1, s[0:1]
	v_cmp_eq_u32_e64 s[0:1], s25, v12
	v_cndmask_b32_e64 v12, v14, v13, s[0:1]
	v_add_co_u32_e64 v13, s[0:1], 2, v5
	v_addc_co_u32_e64 v14, s[0:1], 0, v9, s[0:1]
	v_add_co_u32_e64 v15, s[0:1], 1, v5
	v_addc_co_u32_e64 v16, s[0:1], 0, v9, s[0:1]
	v_subb_co_u32_e32 v4, vcc, v11, v4, vcc
	v_cmp_ne_u32_e64 s[0:1], 0, v12
	v_cmp_le_u32_e32 vcc, s25, v4
	v_cndmask_b32_e64 v12, v16, v14, s[0:1]
	v_cndmask_b32_e64 v14, 0, -1, vcc
	v_cmp_le_u32_e32 vcc, s24, v3
	v_cndmask_b32_e64 v3, 0, -1, vcc
	v_cmp_eq_u32_e32 vcc, s25, v4
	v_cndmask_b32_e32 v3, v14, v3, vcc
	v_cmp_ne_u32_e32 vcc, 0, v3
	v_cndmask_b32_e64 v3, v15, v13, s[0:1]
	v_cndmask_b32_e32 v4, v9, v12, vcc
	v_cndmask_b32_e32 v3, v5, v3, vcc
.LBB0_4:                                ;   in Loop: Header=BB0_2 Depth=1
	s_andn2_saveexec_b64 s[0:1], s[26:27]
	s_cbranch_execz .LBB0_6
; %bb.5:                                ;   in Loop: Header=BB0_2 Depth=1
	v_cvt_f32_u32_e32 v3, s24
	s_sub_i32 s26, 0, s24
	v_rcp_iflag_f32_e32 v3, v3
	v_mul_f32_e32 v3, 0x4f7ffffe, v3
	v_cvt_u32_f32_e32 v3, v3
	v_mul_lo_u32 v4, s26, v3
	v_mul_hi_u32 v4, v3, v4
	v_add_u32_e32 v3, v3, v4
	v_mul_hi_u32 v3, v10, v3
	v_mul_lo_u32 v4, v3, s24
	v_add_u32_e32 v5, 1, v3
	v_sub_u32_e32 v4, v10, v4
	v_subrev_u32_e32 v9, s24, v4
	v_cmp_le_u32_e32 vcc, s24, v4
	v_cndmask_b32_e32 v4, v4, v9, vcc
	v_cndmask_b32_e32 v3, v3, v5, vcc
	v_add_u32_e32 v5, 1, v3
	v_cmp_le_u32_e32 vcc, s24, v4
	v_cndmask_b32_e32 v3, v3, v5, vcc
	v_mov_b32_e32 v4, v8
.LBB0_6:                                ;   in Loop: Header=BB0_2 Depth=1
	s_or_b64 exec, exec, s[0:1]
	v_mul_lo_u32 v5, v4, s24
	v_mul_lo_u32 v9, v3, s25
	v_mad_u64_u32 v[12:13], s[0:1], v3, s24, 0
	s_load_dwordx2 s[0:1], s[6:7], 0x0
	s_load_dwordx2 s[24:25], s[2:3], 0x0
	v_add3_u32 v5, v13, v9, v5
	v_sub_co_u32_e32 v9, vcc, v10, v12
	v_subb_co_u32_e32 v5, vcc, v11, v5, vcc
	s_waitcnt lgkmcnt(0)
	v_mul_lo_u32 v10, s0, v5
	v_mul_lo_u32 v11, s1, v9
	v_mad_u64_u32 v[6:7], s[0:1], s0, v9, v[6:7]
	s_add_u32 s22, s22, 1
	s_addc_u32 s23, s23, 0
	s_add_u32 s2, s2, 8
	v_mul_lo_u32 v5, s24, v5
	v_mul_lo_u32 v12, s25, v9
	v_mad_u64_u32 v[1:2], s[0:1], s24, v9, v[1:2]
	v_add3_u32 v7, v11, v7, v10
	s_addc_u32 s3, s3, 0
	v_mov_b32_e32 v9, s14
	s_add_u32 s6, s6, 8
	v_mov_b32_e32 v10, s15
	s_addc_u32 s7, s7, 0
	v_cmp_ge_u64_e32 vcc, s[22:23], v[9:10]
	s_add_u32 s20, s20, 8
	v_add3_u32 v2, v12, v2, v5
	s_addc_u32 s21, s21, 0
	s_cbranch_vccnz .LBB0_9
; %bb.7:                                ;   in Loop: Header=BB0_2 Depth=1
	v_mov_b32_e32 v11, v4
	v_mov_b32_e32 v10, v3
	s_branch .LBB0_2
.LBB0_8:
	v_mov_b32_e32 v1, v6
	v_mov_b32_e32 v3, v10
	;; [unrolled: 1-line block ×4, first 2 shown]
.LBB0_9:
	s_load_dwordx2 s[2:3], s[4:5], 0x28
	s_lshl_b64 s[6:7], s[14:15], 3
	s_add_u32 s4, s18, s6
	s_addc_u32 s5, s19, s7
                                        ; implicit-def: $sgpr14
                                        ; implicit-def: $vgpr8
	s_waitcnt lgkmcnt(0)
	v_cmp_gt_u64_e64 s[0:1], s[2:3], v[3:4]
	v_cmp_le_u64_e32 vcc, s[2:3], v[3:4]
	s_and_saveexec_b64 s[2:3], vcc
	s_xor_b64 s[2:3], exec, s[2:3]
; %bb.10:
	s_mov_b32 s14, 0x1745d18
	v_mul_hi_u32 v5, v0, s14
	s_mov_b32 s14, 0
                                        ; implicit-def: $vgpr6_vgpr7
	v_mul_u32_u24_e32 v5, 0xb0, v5
	v_sub_u32_e32 v8, v0, v5
                                        ; implicit-def: $vgpr0
; %bb.11:
	s_or_saveexec_b64 s[2:3], s[2:3]
	s_load_dwordx2 s[4:5], s[4:5], 0x0
	v_mov_b32_e32 v5, s14
                                        ; implicit-def: $vgpr12
                                        ; implicit-def: $vgpr10
                                        ; implicit-def: $vgpr19
                                        ; implicit-def: $vgpr15
                                        ; implicit-def: $vgpr21
                                        ; implicit-def: $vgpr13
                                        ; implicit-def: $vgpr22
                                        ; implicit-def: $vgpr14
                                        ; implicit-def: $vgpr23
                                        ; implicit-def: $vgpr16
                                        ; implicit-def: $vgpr24
                                        ; implicit-def: $vgpr17
                                        ; implicit-def: $vgpr9
                                        ; implicit-def: $vgpr18
                                        ; implicit-def: $vgpr11
                                        ; implicit-def: $vgpr20
	s_xor_b64 exec, exec, s[2:3]
	s_cbranch_execz .LBB0_15
; %bb.12:
	s_add_u32 s6, s16, s6
	s_addc_u32 s7, s17, s7
	s_load_dwordx2 s[6:7], s[6:7], 0x0
	s_mov_b32 s14, 0x1745d18
	v_mul_hi_u32 v5, v0, s14
                                        ; implicit-def: $vgpr20
                                        ; implicit-def: $vgpr18
	s_waitcnt lgkmcnt(0)
	v_mul_lo_u32 v11, s7, v3
	v_mul_lo_u32 v12, s6, v4
	v_mad_u64_u32 v[9:10], s[6:7], s6, v3, 0
	v_mul_u32_u24_e32 v5, 0xb0, v5
	v_sub_u32_e32 v8, v0, v5
	v_add3_u32 v10, v10, v12, v11
	v_lshlrev_b64 v[9:10], 2, v[9:10]
	v_mov_b32_e32 v0, s9
	v_add_co_u32_e32 v9, vcc, s8, v9
	v_lshlrev_b64 v[5:6], 2, v[6:7]
	v_addc_co_u32_e32 v0, vcc, v0, v10, vcc
	v_add_co_u32_e32 v5, vcc, v9, v5
	v_addc_co_u32_e32 v0, vcc, v0, v6, vcc
	v_lshlrev_b32_e32 v6, 2, v8
	v_add_co_u32_e32 v5, vcc, v5, v6
	v_addc_co_u32_e32 v6, vcc, 0, v0, vcc
	global_load_dword v10, v[5:6], off
	global_load_dword v13, v[5:6], off offset:704
	global_load_dword v14, v[5:6], off offset:3168
	;; [unrolled: 1-line block ×5, first 2 shown]
	s_movk_i32 s6, 0x58
	v_cmp_gt_u32_e32 vcc, s6, v8
                                        ; implicit-def: $vgpr11
                                        ; implicit-def: $vgpr9
	s_and_saveexec_b64 s[6:7], vcc
	s_cbranch_execz .LBB0_14
; %bb.13:
	v_add_co_u32_e32 v11, vcc, 0x1000, v5
	v_addc_co_u32_e32 v12, vcc, 0, v6, vcc
	global_load_dword v18, v[5:6], off offset:2112
	global_load_dword v20, v[11:12], off offset:480
	s_waitcnt vmcnt(1)
	v_lshrrev_b32_e32 v9, 16, v18
	s_waitcnt vmcnt(0)
	v_lshrrev_b32_e32 v11, 16, v20
.LBB0_14:
	s_or_b64 exec, exec, s[6:7]
	s_waitcnt vmcnt(5)
	v_lshrrev_b32_e32 v12, 16, v10
	s_waitcnt vmcnt(1)
	v_lshrrev_b32_e32 v19, 16, v15
	v_lshrrev_b32_e32 v21, 16, v13
	;; [unrolled: 1-line block ×3, first 2 shown]
	s_waitcnt vmcnt(0)
	v_lshrrev_b32_e32 v23, 16, v16
	v_lshrrev_b32_e32 v24, 16, v17
	v_mov_b32_e32 v5, v8
.LBB0_15:
	s_or_b64 exec, exec, s[2:3]
	v_sub_f16_e32 v0, v10, v15
	v_fma_f16 v15, v10, 2.0, -v0
	v_sub_f16_e32 v14, v13, v14
	v_fma_f16 v13, v13, 2.0, -v14
	v_sub_f16_e32 v17, v16, v17
	v_lshl_add_u32 v25, v8, 2, 0
	v_pack_b32_f16 v0, v15, v0
	v_add_u32_e32 v26, 0xb0, v8
	v_fma_f16 v16, v16, 2.0, -v17
	v_sub_f16_e32 v6, v18, v20
	ds_write_b32 v25, v0
	v_lshl_add_u32 v29, v26, 2, 0
	v_pack_b32_f16 v0, v13, v14
	v_add_u32_e32 v28, 0x160, v8
	v_add_u32_e32 v13, 0x210, v8
	s_movk_i32 s2, 0x58
	v_fma_f16 v10, v18, 2.0, -v6
	v_lshlrev_b32_e32 v7, 1, v8
	ds_write_b32 v29, v0
	v_lshl_add_u32 v30, v28, 2, 0
	v_pack_b32_f16 v0, v16, v17
	v_cmp_gt_u32_e32 vcc, s2, v8
	v_lshl_add_u32 v27, v13, 2, 0
	ds_write_b32 v30, v0
	s_and_saveexec_b64 s[2:3], vcc
	s_cbranch_execz .LBB0_17
; %bb.16:
	s_mov_b32 s6, 0x5040100
	v_perm_b32 v0, v6, v10, s6
	ds_write_b32 v27, v0
.LBB0_17:
	s_or_b64 exec, exec, s[2:3]
	v_sub_u32_e32 v0, v25, v7
	s_waitcnt lgkmcnt(0)
	s_barrier
	ds_read_u16 v14, v0
	ds_read_u16 v15, v0 offset:352
	ds_read_u16 v16, v0 offset:1584
	;; [unrolled: 1-line block ×5, first 2 shown]
	s_and_saveexec_b64 s[2:3], vcc
	s_cbranch_execz .LBB0_19
; %bb.18:
	ds_read_u16 v10, v0 offset:1056
	ds_read_u16 v6, v0 offset:2288
.LBB0_19:
	s_or_b64 exec, exec, s[2:3]
	v_sub_f16_e32 v31, v12, v19
	v_sub_f16_e32 v22, v21, v22
	v_fma_f16 v12, v12, 2.0, -v31
	v_fma_f16 v32, v21, 2.0, -v22
	v_sub_f16_e32 v21, v9, v11
	v_sub_f16_e32 v24, v23, v24
	v_fma_f16 v19, v9, 2.0, -v21
	v_pack_b32_f16 v9, v12, v31
	v_fma_f16 v23, v23, 2.0, -v24
	s_waitcnt lgkmcnt(0)
	s_barrier
	ds_write_b32 v25, v9
	v_pack_b32_f16 v9, v32, v22
	ds_write_b32 v29, v9
	v_pack_b32_f16 v9, v23, v24
	ds_write_b32 v30, v9
	s_and_saveexec_b64 s[2:3], vcc
	s_cbranch_execz .LBB0_21
; %bb.20:
	s_mov_b32 s6, 0x5040100
	v_perm_b32 v9, v21, v19, s6
	ds_write_b32 v27, v9
.LBB0_21:
	s_or_b64 exec, exec, s[2:3]
	s_waitcnt lgkmcnt(0)
	s_barrier
	ds_read_u16 v24, v0
	ds_read_u16 v25, v0 offset:352
	ds_read_u16 v29, v0 offset:1584
	;; [unrolled: 1-line block ×5, first 2 shown]
	v_lshlrev_b32_e32 v9, 1, v26
	v_lshlrev_b32_e32 v11, 1, v28
	s_and_saveexec_b64 s[2:3], vcc
	s_cbranch_execz .LBB0_23
; %bb.22:
	ds_read_u16 v19, v0 offset:1056
	ds_read_u16 v21, v0 offset:2288
.LBB0_23:
	s_or_b64 exec, exec, s[2:3]
	v_and_b32_e32 v28, 1, v8
	v_lshlrev_b32_e32 v12, 2, v28
	global_load_dword v32, v12, s[12:13]
	s_movk_i32 s2, 0x1fc
	s_movk_i32 s6, 0x7fc
	s_movk_i32 s3, 0x3fc
	v_and_or_b32 v12, v7, s2, v28
	v_and_or_b32 v23, v11, s6, v28
	v_and_or_b32 v22, v9, s3, v28
	v_lshl_add_u32 v35, v12, 1, 0
	v_lshl_add_u32 v33, v23, 1, 0
	;; [unrolled: 1-line block ×3, first 2 shown]
	s_waitcnt vmcnt(0) lgkmcnt(0)
	s_barrier
	v_mul_f16_sdwa v12, v31, v32 dst_sel:DWORD dst_unused:UNUSED_PAD src0_sel:DWORD src1_sel:WORD_1
	v_mul_f16_sdwa v23, v30, v32 dst_sel:DWORD dst_unused:UNUSED_PAD src0_sel:DWORD src1_sel:WORD_1
	;; [unrolled: 1-line block ×4, first 2 shown]
	v_fma_f16 v12, v18, v32, v12
	v_fma_f16 v23, v17, v32, v23
	;; [unrolled: 1-line block ×4, first 2 shown]
	v_sub_f16_e32 v36, v14, v12
	v_sub_f16_e32 v23, v20, v23
	;; [unrolled: 1-line block ×4, first 2 shown]
	v_fma_f16 v26, v20, 2.0, -v23
	v_fma_f16 v20, v10, 2.0, -v12
	v_lshlrev_b32_e32 v10, 1, v13
	v_fma_f16 v14, v14, 2.0, -v36
	v_fma_f16 v15, v15, 2.0, -v22
	ds_write_b16 v35, v36 offset:4
	ds_write_b16 v35, v14
	ds_write_b16 v34, v15
	ds_write_b16 v34, v22 offset:4
	ds_write_b16 v33, v26
	ds_write_b16 v33, v23 offset:4
	s_and_saveexec_b64 s[2:3], vcc
	s_cbranch_execz .LBB0_25
; %bb.24:
	s_movk_i32 s6, 0x5fc
	v_and_or_b32 v13, v10, s6, v28
	v_lshl_add_u32 v13, v13, 1, 0
	ds_write_b16 v13, v20
	ds_write_b16 v13, v12 offset:4
.LBB0_25:
	s_or_b64 exec, exec, s[2:3]
	s_waitcnt lgkmcnt(0)
	s_barrier
	ds_read_u16 v22, v0
	ds_read_u16 v23, v0 offset:352
	ds_read_u16 v13, v0 offset:1584
	;; [unrolled: 1-line block ×5, first 2 shown]
	s_and_saveexec_b64 s[2:3], vcc
	s_cbranch_execz .LBB0_27
; %bb.26:
	ds_read_u16 v20, v0 offset:1056
	ds_read_u16 v12, v0 offset:2288
.LBB0_27:
	s_or_b64 exec, exec, s[2:3]
	v_mul_f16_sdwa v18, v18, v32 dst_sel:DWORD dst_unused:UNUSED_PAD src0_sel:DWORD src1_sel:WORD_1
	v_mul_f16_sdwa v6, v6, v32 dst_sel:DWORD dst_unused:UNUSED_PAD src0_sel:DWORD src1_sel:WORD_1
	v_fma_f16 v18, v31, v32, -v18
	v_mul_f16_sdwa v16, v16, v32 dst_sel:DWORD dst_unused:UNUSED_PAD src0_sel:DWORD src1_sel:WORD_1
	v_mul_f16_sdwa v17, v17, v32 dst_sel:DWORD dst_unused:UNUSED_PAD src0_sel:DWORD src1_sel:WORD_1
	v_fma_f16 v6, v21, v32, -v6
	v_fma_f16 v16, v29, v32, -v16
	;; [unrolled: 1-line block ×3, first 2 shown]
	v_sub_f16_e32 v21, v24, v18
	v_sub_f16_e32 v18, v19, v6
	v_fma_f16 v24, v24, 2.0, -v21
	v_sub_f16_e32 v16, v25, v16
	v_sub_f16_e32 v29, v27, v17
	v_fma_f16 v17, v19, 2.0, -v18
	v_fma_f16 v25, v25, 2.0, -v16
	;; [unrolled: 1-line block ×3, first 2 shown]
	s_waitcnt lgkmcnt(0)
	s_barrier
	ds_write_b16 v35, v24
	ds_write_b16 v35, v21 offset:4
	ds_write_b16 v34, v25
	ds_write_b16 v34, v16 offset:4
	;; [unrolled: 2-line block ×3, first 2 shown]
	s_and_saveexec_b64 s[2:3], vcc
	s_cbranch_execz .LBB0_29
; %bb.28:
	s_movk_i32 s6, 0x5fc
	v_and_or_b32 v6, v10, s6, v28
	v_lshl_add_u32 v6, v6, 1, 0
	ds_write_b16 v6, v17
	ds_write_b16 v6, v18 offset:4
.LBB0_29:
	s_or_b64 exec, exec, s[2:3]
	s_waitcnt lgkmcnt(0)
	s_barrier
	ds_read_u16 v27, v0
	ds_read_u16 v28, v0 offset:352
	ds_read_u16 v31, v0 offset:1584
	;; [unrolled: 1-line block ×5, first 2 shown]
	s_and_saveexec_b64 s[2:3], vcc
	s_cbranch_execz .LBB0_31
; %bb.30:
	ds_read_u16 v17, v0 offset:1056
	ds_read_u16 v18, v0 offset:2288
.LBB0_31:
	s_or_b64 exec, exec, s[2:3]
	v_and_b32_e32 v29, 3, v8
	v_lshlrev_b32_e32 v6, 2, v29
	global_load_dword v34, v6, s[12:13] offset:8
	s_movk_i32 s2, 0x1f8
	s_movk_i32 s3, 0x3f8
	;; [unrolled: 1-line block ×3, first 2 shown]
	v_and_or_b32 v6, v7, s2, v29
	v_and_or_b32 v16, v9, s3, v29
	;; [unrolled: 1-line block ×3, first 2 shown]
	v_lshl_add_u32 v37, v6, 1, 0
	v_lshl_add_u32 v36, v16, 1, 0
	;; [unrolled: 1-line block ×3, first 2 shown]
	s_waitcnt vmcnt(0) lgkmcnt(0)
	s_barrier
	v_mul_f16_sdwa v6, v33, v34 dst_sel:DWORD dst_unused:UNUSED_PAD src0_sel:DWORD src1_sel:WORD_1
	v_mul_f16_sdwa v16, v31, v34 dst_sel:DWORD dst_unused:UNUSED_PAD src0_sel:DWORD src1_sel:WORD_1
	;; [unrolled: 1-line block ×4, first 2 shown]
	v_fma_f16 v6, v15, v34, v6
	v_fma_f16 v16, v13, v34, v16
	;; [unrolled: 1-line block ×4, first 2 shown]
	v_sub_f16_e32 v6, v22, v6
	v_sub_f16_e32 v24, v23, v16
	;; [unrolled: 1-line block ×4, first 2 shown]
	v_fma_f16 v21, v22, 2.0, -v6
	v_fma_f16 v22, v20, 2.0, -v16
	;; [unrolled: 1-line block ×4, first 2 shown]
	ds_write_b16 v37, v6 offset:8
	ds_write_b16 v37, v21
	ds_write_b16 v36, v23
	ds_write_b16 v36, v24 offset:8
	ds_write_b16 v35, v25
	ds_write_b16 v35, v19 offset:8
	s_and_saveexec_b64 s[2:3], vcc
	s_cbranch_execz .LBB0_33
; %bb.32:
	s_movk_i32 s6, 0x5f8
	v_and_or_b32 v6, v10, s6, v29
	v_lshl_add_u32 v6, v6, 1, 0
	ds_write_b16 v6, v22
	ds_write_b16 v6, v16 offset:8
.LBB0_33:
	s_or_b64 exec, exec, s[2:3]
	s_waitcnt lgkmcnt(0)
	s_barrier
	ds_read_u16 v19, v0
	ds_read_u16 v23, v0 offset:352
	ds_read_u16 v20, v0 offset:1584
	;; [unrolled: 1-line block ×5, first 2 shown]
	v_lshl_add_u32 v6, v8, 1, 0
	s_and_saveexec_b64 s[2:3], vcc
	s_cbranch_execz .LBB0_35
; %bb.34:
	ds_read_u16 v22, v6 offset:1056
	ds_read_u16 v16, v0 offset:2288
.LBB0_35:
	s_or_b64 exec, exec, s[2:3]
	v_mul_f16_sdwa v15, v15, v34 dst_sel:DWORD dst_unused:UNUSED_PAD src0_sel:DWORD src1_sel:WORD_1
	v_fma_f16 v15, v33, v34, -v15
	v_mul_f16_sdwa v12, v12, v34 dst_sel:DWORD dst_unused:UNUSED_PAD src0_sel:DWORD src1_sel:WORD_1
	v_mul_f16_sdwa v13, v13, v34 dst_sel:DWORD dst_unused:UNUSED_PAD src0_sel:DWORD src1_sel:WORD_1
	v_mul_f16_sdwa v14, v14, v34 dst_sel:DWORD dst_unused:UNUSED_PAD src0_sel:DWORD src1_sel:WORD_1
	v_fma_f16 v12, v18, v34, -v12
	v_sub_f16_e32 v15, v27, v15
	v_fma_f16 v13, v31, v34, -v13
	v_fma_f16 v14, v32, v34, -v14
	v_fma_f16 v18, v27, 2.0, -v15
	v_sub_f16_e32 v27, v17, v12
	v_sub_f16_e32 v13, v28, v13
	;; [unrolled: 1-line block ×3, first 2 shown]
	v_fma_f16 v26, v17, 2.0, -v27
	v_fma_f16 v28, v28, 2.0, -v13
	;; [unrolled: 1-line block ×3, first 2 shown]
	s_waitcnt lgkmcnt(0)
	s_barrier
	ds_write_b16 v37, v18
	ds_write_b16 v37, v15 offset:8
	ds_write_b16 v36, v28
	ds_write_b16 v36, v13 offset:8
	;; [unrolled: 2-line block ×3, first 2 shown]
	s_and_saveexec_b64 s[2:3], vcc
	s_cbranch_execz .LBB0_37
; %bb.36:
	s_movk_i32 s6, 0x5f8
	v_and_or_b32 v12, v10, s6, v29
	v_lshl_add_u32 v12, v12, 1, 0
	ds_write_b16 v12, v26
	ds_write_b16 v12, v27 offset:8
.LBB0_37:
	s_or_b64 exec, exec, s[2:3]
	s_waitcnt lgkmcnt(0)
	s_barrier
	ds_read_u16 v28, v0
	ds_read_u16 v29, v0 offset:352
	ds_read_u16 v32, v0 offset:1584
	;; [unrolled: 1-line block ×5, first 2 shown]
	s_and_saveexec_b64 s[2:3], vcc
	s_cbranch_execz .LBB0_39
; %bb.38:
	ds_read_u16 v26, v6 offset:1056
	ds_read_u16 v27, v0 offset:2288
.LBB0_39:
	s_or_b64 exec, exec, s[2:3]
	v_and_b32_e32 v30, 7, v8
	v_lshlrev_b32_e32 v12, 2, v30
	global_load_dword v35, v12, s[12:13] offset:24
	s_movk_i32 s2, 0x1f0
	s_movk_i32 s3, 0x3f0
	;; [unrolled: 1-line block ×3, first 2 shown]
	v_and_or_b32 v7, v7, s2, v30
	v_and_or_b32 v9, v9, s3, v30
	;; [unrolled: 1-line block ×3, first 2 shown]
	v_lshl_add_u32 v37, v7, 1, 0
	v_lshl_add_u32 v36, v9, 1, 0
	;; [unrolled: 1-line block ×3, first 2 shown]
	s_waitcnt vmcnt(0) lgkmcnt(0)
	s_barrier
	v_mul_f16_sdwa v9, v34, v35 dst_sel:DWORD dst_unused:UNUSED_PAD src0_sel:DWORD src1_sel:WORD_1
	v_mul_f16_sdwa v11, v32, v35 dst_sel:DWORD dst_unused:UNUSED_PAD src0_sel:DWORD src1_sel:WORD_1
	;; [unrolled: 1-line block ×4, first 2 shown]
	v_fma_f16 v9, v25, v35, v9
	v_fma_f16 v11, v20, v35, v11
	;; [unrolled: 1-line block ×4, first 2 shown]
	v_sub_f16_e32 v14, v19, v9
	v_sub_f16_e32 v13, v23, v11
	;; [unrolled: 1-line block ×4, first 2 shown]
	v_fma_f16 v11, v19, 2.0, -v14
	v_fma_f16 v19, v23, 2.0, -v13
	;; [unrolled: 1-line block ×4, first 2 shown]
	ds_write_b16 v37, v14 offset:16
	ds_write_b16 v37, v11
	ds_write_b16 v36, v19
	ds_write_b16 v36, v13 offset:16
	ds_write_b16 v7, v17
	ds_write_b16 v7, v12 offset:16
	s_and_saveexec_b64 s[2:3], vcc
	s_cbranch_execz .LBB0_41
; %bb.40:
	s_movk_i32 s6, 0x5f0
	v_and_or_b32 v9, v10, s6, v30
	v_lshl_add_u32 v9, v9, 1, 0
	ds_write_b16 v9, v15
	ds_write_b16 v9, v18 offset:16
.LBB0_41:
	s_or_b64 exec, exec, s[2:3]
	s_movk_i32 s2, 0x70
	v_cmp_gt_u32_e64 s[2:3], s2, v8
	s_waitcnt lgkmcnt(0)
	s_barrier
	s_waitcnt lgkmcnt(0)
                                        ; implicit-def: $vgpr22
                                        ; implicit-def: $vgpr24
                                        ; implicit-def: $vgpr23
	s_and_saveexec_b64 s[6:7], s[2:3]
	s_cbranch_execz .LBB0_43
; %bb.42:
	ds_read_u16 v11, v0
	ds_read_u16 v14, v0 offset:224
	ds_read_u16 v19, v0 offset:448
	;; [unrolled: 1-line block ×10, first 2 shown]
.LBB0_43:
	s_or_b64 exec, exec, s[6:7]
	v_mul_f16_sdwa v20, v20, v35 dst_sel:DWORD dst_unused:UNUSED_PAD src0_sel:DWORD src1_sel:WORD_1
	v_mul_f16_sdwa v9, v25, v35 dst_sel:DWORD dst_unused:UNUSED_PAD src0_sel:DWORD src1_sel:WORD_1
	v_fma_f16 v25, v32, v35, -v20
	v_mul_f16_sdwa v20, v21, v35 dst_sel:DWORD dst_unused:UNUSED_PAD src0_sel:DWORD src1_sel:WORD_1
	v_mul_f16_sdwa v16, v16, v35 dst_sel:DWORD dst_unused:UNUSED_PAD src0_sel:DWORD src1_sel:WORD_1
	v_fma_f16 v9, v34, v35, -v9
	v_fma_f16 v32, v33, v35, -v20
	;; [unrolled: 1-line block ×3, first 2 shown]
	v_sub_f16_e32 v20, v28, v9
	v_sub_f16_e32 v16, v29, v25
	;; [unrolled: 1-line block ×4, first 2 shown]
	v_fma_f16 v9, v28, 2.0, -v20
	v_fma_f16 v21, v29, 2.0, -v16
	;; [unrolled: 1-line block ×4, first 2 shown]
	s_waitcnt lgkmcnt(0)
	s_barrier
	ds_write_b16 v37, v9
	ds_write_b16 v37, v20 offset:16
	ds_write_b16 v36, v21
	ds_write_b16 v36, v16 offset:16
	;; [unrolled: 2-line block ×3, first 2 shown]
	s_and_saveexec_b64 s[6:7], vcc
	s_cbranch_execz .LBB0_45
; %bb.44:
	s_movk_i32 s8, 0x5f0
	v_and_or_b32 v7, v10, s8, v30
	v_lshl_add_u32 v7, v7, 1, 0
	ds_write_b16 v7, v26
	ds_write_b16 v7, v25 offset:16
.LBB0_45:
	s_or_b64 exec, exec, s[6:7]
	s_waitcnt lgkmcnt(0)
	s_barrier
	s_waitcnt lgkmcnt(0)
                                        ; implicit-def: $vgpr10
                                        ; implicit-def: $vgpr29
                                        ; implicit-def: $vgpr32
	s_and_saveexec_b64 s[6:7], s[2:3]
	s_cbranch_execz .LBB0_47
; %bb.46:
	ds_read_u16 v9, v0
	ds_read_u16 v20, v0 offset:224
	ds_read_u16 v21, v0 offset:448
	;; [unrolled: 1-line block ×10, first 2 shown]
.LBB0_47:
	s_or_b64 exec, exec, s[6:7]
	v_and_b32_e32 v7, 15, v8
	v_mul_u32_u24_e32 v30, 10, v7
	v_lshlrev_b32_e32 v30, 2, v30
	global_load_dwordx4 v[35:38], v30, s[12:13] offset:56
	global_load_dwordx4 v[39:42], v30, s[12:13] offset:72
	global_load_dwordx2 v[43:44], v30, s[12:13] offset:88
	s_waitcnt vmcnt(0) lgkmcnt(0)
	s_barrier
	v_mul_f16_sdwa v30, v20, v35 dst_sel:DWORD dst_unused:UNUSED_PAD src0_sel:DWORD src1_sel:WORD_1
	v_mul_f16_sdwa v31, v14, v35 dst_sel:DWORD dst_unused:UNUSED_PAD src0_sel:DWORD src1_sel:WORD_1
	;; [unrolled: 1-line block ×20, first 2 shown]
	v_fma_f16 v34, v14, v35, v30
	v_fma_f16 v35, v20, v35, -v31
	v_fma_f16 v30, v19, v36, v33
	v_fma_f16 v31, v21, v36, -v45
	;; [unrolled: 2-line block ×10, first 2 shown]
	v_lshrrev_b32_e32 v10, 4, v8
	s_and_saveexec_b64 s[6:7], s[2:3]
	s_cbranch_execz .LBB0_49
; %bb.48:
	v_sub_f16_e32 v24, v35, v37
	v_add_f16_e32 v22, v34, v36
	v_mul_f16_e32 v25, 0xb482, v24
	s_mov_b32 s8, 0xbbad
	v_sub_f16_e32 v29, v31, v33
	v_fma_f16 v26, v22, s8, -v25
	v_add_f16_e32 v28, v30, v32
	v_mul_f16_e32 v38, 0x3853, v29
	s_movk_i32 s9, 0x3abb
	v_add_f16_e32 v26, v11, v26
	v_fma_f16 v39, v28, s9, -v38
	v_sub_f16_e32 v40, v21, v27
	v_add_f16_e32 v26, v39, v26
	v_add_f16_e32 v39, v20, v23
	v_mul_f16_e32 v41, 0xba0c, v40
	s_mov_b32 s14, 0xb93d
	v_fma_f16 v42, v39, s14, -v41
	v_sub_f16_e32 v43, v17, v19
	v_fma_f16 v25, v22, s8, v25
	v_add_f16_e32 v26, v42, v26
	v_add_f16_e32 v42, v16, v18
	v_mul_f16_e32 v44, 0x3b47, v43
	s_movk_i32 s15, 0x36a6
	v_add_f16_e32 v25, v11, v25
	v_fma_f16 v38, v28, s9, v38
	v_fma_f16 v45, v42, s15, -v44
	v_sub_f16_e32 v46, v13, v15
	v_add_f16_e32 v25, v38, v25
	v_fma_f16 v38, v39, s14, v41
	v_add_f16_e32 v26, v45, v26
	v_add_f16_e32 v45, v12, v14
	s_mov_b32 s16, 0xb08e
	v_mul_f16_e32 v47, 0xbbeb, v46
	v_add_f16_e32 v25, v38, v25
	v_fma_f16 v38, v42, s15, v44
	v_add_f16_e32 v25, v38, v25
	v_fma_f16 v38, v45, s16, v47
	v_add_f16_e32 v25, v38, v25
	v_mul_f16_e32 v38, 0xba0c, v24
	v_fma_f16 v41, v22, s14, -v38
	v_mul_f16_e32 v44, 0x3beb, v29
	v_fma_f16 v48, v45, s16, -v47
	v_add_f16_e32 v41, v11, v41
	v_fma_f16 v47, v28, s16, -v44
	v_add_f16_e32 v41, v47, v41
	v_mul_f16_e32 v47, 0xb853, v40
	v_add_f16_e32 v26, v48, v26
	v_fma_f16 v48, v39, s9, -v47
	v_fma_f16 v38, v22, s14, v38
	v_add_f16_e32 v41, v48, v41
	v_mul_f16_e32 v48, 0xb482, v43
	v_add_f16_e32 v38, v11, v38
	v_fma_f16 v44, v28, s16, v44
	v_fma_f16 v49, v42, s8, -v48
	v_add_f16_e32 v38, v44, v38
	v_fma_f16 v44, v39, s9, v47
	v_add_f16_e32 v41, v49, v41
	v_mul_f16_e32 v49, 0x3b47, v46
	v_add_f16_e32 v38, v44, v38
	v_fma_f16 v44, v42, s8, v48
	v_add_f16_e32 v38, v44, v38
	v_fma_f16 v44, v45, s15, v49
	v_add_f16_e32 v38, v44, v38
	v_mul_f16_e32 v44, 0xbbeb, v24
	v_fma_f16 v47, v22, s16, -v44
	v_mul_f16_e32 v48, 0x3482, v29
	v_fma_f16 v50, v45, s15, -v49
	v_add_f16_e32 v47, v11, v47
	v_fma_f16 v49, v28, s8, -v48
	v_add_f16_e32 v47, v49, v47
	v_mul_f16_e32 v49, 0x3b47, v40
	v_add_f16_e32 v41, v50, v41
	v_fma_f16 v50, v39, s15, -v49
	v_fma_f16 v44, v22, s16, v44
	v_add_f16_e32 v47, v50, v47
	v_mul_f16_e32 v50, 0xb853, v43
	v_add_f16_e32 v44, v11, v44
	v_fma_f16 v48, v28, s8, v48
	v_fma_f16 v51, v42, s9, -v50
	v_add_f16_e32 v44, v48, v44
	v_fma_f16 v48, v39, s15, v49
	v_add_f16_e32 v47, v51, v47
	;; [unrolled: 25-line block ×3, first 2 shown]
	v_mul_f16_e32 v53, 0x3853, v46
	v_add_f16_e32 v48, v50, v48
	v_fma_f16 v50, v42, s16, v52
	v_add_f16_e32 v48, v50, v48
	v_fma_f16 v50, v45, s9, v53
	v_mul_f16_e32 v24, 0xb853, v24
	v_add_f16_e32 v48, v50, v48
	v_fma_f16 v50, v22, s9, -v24
	v_fma_f16 v22, v22, s9, v24
	v_add_f16_e32 v50, v11, v50
	v_add_f16_e32 v22, v11, v22
	;; [unrolled: 1-line block ×4, first 2 shown]
	v_mul_f16_e32 v29, 0xbb47, v29
	v_add_f16_e32 v11, v11, v20
	v_mul_f16_e32 v40, 0xbbeb, v40
	v_fma_f16 v24, v28, s15, v29
	v_add_f16_e32 v11, v11, v16
	v_mul_f16_e32 v43, 0xba0c, v43
	v_add_f16_e32 v22, v24, v22
	v_fma_f16 v24, v39, s16, v40
	v_add_f16_e32 v11, v11, v12
	v_mul_f16_e32 v46, 0xb482, v46
	v_add_f16_e32 v22, v24, v22
	v_add_f16_e32 v11, v11, v14
	v_fma_f16 v24, v42, s14, v43
	v_fma_f16 v51, v28, s15, -v29
	v_add_f16_e32 v11, v11, v18
	v_add_f16_e32 v22, v24, v22
	v_fma_f16 v24, v45, s8, v46
	v_add_f16_e32 v50, v51, v50
	v_fma_f16 v51, v39, s16, -v40
	v_add_f16_e32 v11, v11, v23
	v_add_f16_e32 v22, v24, v22
	v_mul_u32_u24_e32 v24, 0xb0, v10
	v_add_f16_e32 v50, v51, v50
	v_fma_f16 v51, v42, s14, -v43
	v_add_f16_e32 v11, v11, v32
	v_or_b32_e32 v24, v24, v7
	v_fma_f16 v54, v45, s9, -v53
	v_add_f16_e32 v50, v51, v50
	v_fma_f16 v51, v45, s8, -v46
	v_add_f16_e32 v11, v11, v36
	v_lshl_add_u32 v24, v24, 1, 0
	v_add_f16_e32 v49, v54, v49
	v_add_f16_e32 v50, v51, v50
	ds_write_b16 v24, v11
	ds_write_b16 v24, v22 offset:32
	ds_write_b16 v24, v48 offset:64
	;; [unrolled: 1-line block ×10, first 2 shown]
.LBB0_49:
	s_or_b64 exec, exec, s[6:7]
	s_waitcnt lgkmcnt(0)
	s_barrier
	ds_read_u16 v11, v0
	ds_read_u16 v24, v0 offset:352
	ds_read_u16 v22, v0 offset:704
	;; [unrolled: 1-line block ×6, first 2 shown]
	s_waitcnt lgkmcnt(0)
	s_barrier
	s_and_saveexec_b64 s[6:7], s[2:3]
	s_cbranch_execz .LBB0_51
; %bb.50:
	v_add_f16_e32 v38, v9, v35
	v_add_f16_e32 v38, v38, v31
	;; [unrolled: 1-line block ×10, first 2 shown]
	v_sub_f16_e32 v34, v34, v36
	v_mul_f16_e32 v36, 0x3abb, v35
	s_movk_i32 s2, 0x3853
	s_mov_b32 s3, 0xb853
	v_mul_f16_e32 v39, 0x36a6, v35
	s_movk_i32 s8, 0x3b47
	s_mov_b32 s9, 0xbb47
	;; [unrolled: 3-line block ×5, first 2 shown]
	v_add_f16_e32 v31, v31, v33
	v_add_f16_e32 v38, v38, v37
	v_fma_f16 v37, v34, s2, v36
	v_fma_f16 v36, v34, s3, v36
	;; [unrolled: 1-line block ×10, first 2 shown]
	v_sub_f16_e32 v30, v30, v32
	v_mul_f16_e32 v32, 0x36a6, v31
	v_add_f16_e32 v37, v9, v37
	v_add_f16_e32 v36, v9, v36
	;; [unrolled: 1-line block ×10, first 2 shown]
	v_fma_f16 v33, v30, s8, v32
	v_fma_f16 v32, v30, s9, v32
	v_mul_f16_e32 v34, 0xb93d, v31
	v_add_f16_e32 v32, v32, v36
	v_fma_f16 v35, v30, s16, v34
	v_fma_f16 v34, v30, s17, v34
	v_mul_f16_e32 v36, 0xbbad, v31
	v_add_f16_e32 v33, v33, v37
	v_add_f16_e32 v34, v34, v39
	v_fma_f16 v37, v30, s19, v36
	v_fma_f16 v36, v30, s18, v36
	v_mul_f16_e32 v39, 0xb08e, v31
	v_mul_f16_e32 v31, 0x3abb, v31
	v_add_f16_e32 v21, v21, v27
	v_add_f16_e32 v35, v35, v40
	v_add_f16_e32 v36, v36, v41
	v_fma_f16 v40, v30, s15, v39
	v_fma_f16 v39, v30, s14, v39
	v_fma_f16 v41, v30, s3, v31
	v_fma_f16 v30, v30, s2, v31
	v_sub_f16_e32 v20, v20, v23
	v_mul_f16_e32 v23, 0xb08e, v21
	v_add_f16_e32 v9, v30, v9
	v_fma_f16 v27, v20, s14, v23
	v_fma_f16 v23, v20, s15, v23
	v_mul_f16_e32 v30, 0xbbad, v21
	v_add_f16_e32 v23, v23, v32
	v_fma_f16 v31, v20, s19, v30
	v_fma_f16 v30, v20, s18, v30
	v_mul_f16_e32 v32, 0x36a6, v21
	v_add_f16_e32 v27, v27, v33
	v_add_f16_e32 v30, v30, v34
	v_fma_f16 v33, v20, s9, v32
	v_fma_f16 v32, v20, s8, v32
	v_mul_f16_e32 v34, 0x3abb, v21
	v_mul_f16_e32 v21, 0xb93d, v21
	v_add_f16_e32 v17, v17, v19
	v_add_f16_e32 v31, v31, v35
	v_add_f16_e32 v32, v32, v36
	v_fma_f16 v35, v20, s2, v34
	v_fma_f16 v34, v20, s3, v34
	v_fma_f16 v36, v20, s16, v21
	v_fma_f16 v20, v20, s17, v21
	v_sub_f16_e32 v16, v16, v18
	v_mul_f16_e32 v18, 0xb93d, v17
	v_add_f16_e32 v9, v20, v9
	;; [unrolled: 23-line block ×3, first 2 shown]
	v_fma_f16 v15, v12, s18, v14
	v_fma_f16 v14, v12, s19, v14
	v_mul_f16_e32 v16, 0x3abb, v13
	v_add_f16_e32 v37, v37, v42
	v_add_f16_e32 v40, v40, v44
	;; [unrolled: 1-line block ×5, first 2 shown]
	v_fma_f16 v17, v12, s3, v16
	v_fma_f16 v16, v12, s2, v16
	v_mul_f16_e32 v18, 0xb93d, v13
	v_mul_u32_u24_e32 v10, 0xb0, v10
	v_add_f16_e32 v33, v33, v37
	v_add_f16_e32 v35, v35, v40
	;; [unrolled: 1-line block ×6, first 2 shown]
	v_fma_f16 v19, v12, s16, v18
	v_fma_f16 v18, v12, s17, v18
	v_mul_f16_e32 v20, 0x36a6, v13
	v_mul_f16_e32 v13, 0xb08e, v13
	v_or_b32_e32 v7, v10, v7
	v_add_f16_e32 v27, v27, v33
	v_add_f16_e32 v31, v31, v35
	;; [unrolled: 1-line block ×6, first 2 shown]
	v_fma_f16 v21, v12, s9, v20
	v_fma_f16 v20, v12, s8, v20
	;; [unrolled: 1-line block ×4, first 2 shown]
	v_lshl_add_u32 v7, v7, 1, 0
	v_add_f16_e32 v19, v19, v27
	v_add_f16_e32 v21, v21, v31
	;; [unrolled: 1-line block ×5, first 2 shown]
	ds_write_b16 v7, v38
	ds_write_b16 v7, v15 offset:32
	ds_write_b16 v7, v17 offset:64
	;; [unrolled: 1-line block ×10, first 2 shown]
.LBB0_51:
	s_or_b64 exec, exec, s[6:7]
	s_waitcnt lgkmcnt(0)
	s_barrier
	s_and_saveexec_b64 s[2:3], s[0:1]
	s_cbranch_execz .LBB0_53
; %bb.52:
	v_mul_u32_u24_e32 v7, 6, v8
	v_lshlrev_b32_e32 v14, 2, v7
	global_load_dwordx4 v[7:10], v14, s[12:13] offset:696
	global_load_dwordx2 v[12:13], v14, s[12:13] offset:712
	v_mul_lo_u32 v14, s5, v3
	v_mul_lo_u32 v15, s4, v4
	v_mad_u64_u32 v[3:4], s[0:1], s4, v3, 0
	ds_read_u16 v6, v6 offset:1056
	ds_read_u16 v16, v0 offset:2112
	;; [unrolled: 1-line block ×6, first 2 shown]
	ds_read_u16 v0, v0
	v_add3_u32 v4, v4, v15, v14
	s_mov_b32 s0, 0xb574
	s_mov_b32 s1, 0xb70e
	s_movk_i32 s2, 0x3a52
	s_mov_b32 s3, 0xbcab
	v_lshlrev_b64 v[3:4], 2, v[3:4]
	v_add_co_u32_e32 v3, vcc, s10, v3
	s_waitcnt vmcnt(1)
	v_lshrrev_b32_e32 v14, 16, v7
	v_lshrrev_b32_e32 v15, 16, v8
	;; [unrolled: 1-line block ×4, first 2 shown]
	v_mul_f16_e32 v27, v24, v7
	s_waitcnt vmcnt(0)
	v_lshrrev_b32_e32 v30, 16, v12
	v_lshrrev_b32_e32 v31, 16, v13
	v_mul_f16_e32 v32, v29, v13
	v_mul_f16_e32 v33, v25, v10
	;; [unrolled: 1-line block ×5, first 2 shown]
	s_waitcnt lgkmcnt(1)
	v_fma_f16 v27, v20, v14, v27
	v_fma_f16 v32, v16, v31, v32
	;; [unrolled: 1-line block ×6, first 2 shown]
	v_mul_f16_e32 v29, v29, v31
	v_mul_f16_e32 v14, v24, v14
	;; [unrolled: 1-line block ×6, first 2 shown]
	v_sub_f16_e32 v22, v27, v32
	v_sub_f16_e32 v25, v33, v34
	;; [unrolled: 1-line block ×3, first 2 shown]
	v_fma_f16 v13, v16, v13, -v29
	v_fma_f16 v7, v20, v7, -v14
	;; [unrolled: 1-line block ×6, first 2 shown]
	v_add_f16_e32 v12, v27, v32
	v_add_f16_e32 v15, v35, v36
	;; [unrolled: 1-line block ×3, first 2 shown]
	v_sub_f16_e32 v16, v22, v25
	v_sub_f16_e32 v17, v25, v26
	v_add_f16_e32 v18, v25, v26
	v_add_f16_e32 v19, v7, v13
	;; [unrolled: 1-line block ×5, first 2 shown]
	v_sub_f16_e32 v7, v7, v13
	v_sub_f16_e32 v6, v9, v6
	;; [unrolled: 1-line block ×5, first 2 shown]
	v_mul_f16_e32 v9, 0x3846, v17
	v_add_f16_e32 v10, v22, v18
	v_sub_f16_e32 v17, v20, v21
	v_add_f16_e32 v18, v19, v21
	v_add_f16_e32 v14, v14, v25
	v_sub_f16_e32 v25, v7, v6
	v_sub_f16_e32 v28, v6, v8
	v_add_f16_e32 v6, v6, v8
	v_sub_f16_e32 v13, v19, v20
	v_mul_f16_e32 v24, 0x2b26, v24
	v_fma_f16 v29, v16, s0, v9
	v_mul_f16_e32 v17, 0x2b26, v17
	v_add_f16_e32 v18, v20, v18
	v_mul_f16_e32 v28, 0x3846, v28
	v_add_f16_e32 v6, v7, v6
	v_sub_f16_e32 v22, v26, v22
	v_sub_f16_e32 v7, v8, v7
	v_mul_f16_e32 v27, 0x3a52, v23
	v_mul_f16_e32 v30, 0x3a52, v13
	v_fma_f16 v20, v23, s2, v24
	v_add_f16_e32 v11, v11, v14
	v_fma_f16 v23, v10, s1, v29
	v_fma_f16 v13, v13, s2, v17
	s_waitcnt lgkmcnt(0)
	v_add_f16_e32 v29, v0, v18
	v_fma_f16 v31, v25, s0, v28
	s_mov_b32 s0, 0xbb00
	v_mul_f16_e32 v26, 0xbb00, v22
	s_movk_i32 s2, 0x3574
	v_mul_f16_e32 v8, 0xbb00, v7
	v_fma_f16 v0, v14, s3, v11
	v_fma_f16 v14, v18, s3, v29
	v_fma_f16 v16, v16, s2, -v26
	s_mov_b32 s3, 0xb9e0
	v_sub_f16_e32 v12, v15, v12
	v_fma_f16 v8, v25, s2, -v8
	s_movk_i32 s2, 0x39e0
	v_fma_f16 v7, v7, s0, -v28
	v_fma_f16 v31, v6, s1, v31
	v_fma_f16 v15, v12, s3, -v27
	v_fma_f16 v8, v6, s1, v8
	v_fma_f16 v6, v6, s1, v7
	v_fma_f16 v7, v12, s2, -v24
	v_add_f16_e32 v18, v20, v0
	v_add_f16_e32 v15, v15, v0
	;; [unrolled: 1-line block ×4, first 2 shown]
	v_sub_f16_e32 v12, v0, v6
	v_mov_b32_e32 v0, s11
	v_addc_co_u32_e32 v4, vcc, v0, v4, vcc
	v_lshlrev_b64 v[0:1], 2, v[1:2]
	v_mov_b32_e32 v6, 0
	v_add_co_u32_e32 v2, vcc, v3, v0
	v_addc_co_u32_e32 v3, vcc, v4, v1, vcc
	v_lshlrev_b64 v[0:1], 2, v[5:6]
	v_sub_f16_e32 v19, v21, v19
	v_add_f16_e32 v13, v13, v14
	v_fma_f16 v21, v19, s3, -v30
	v_fma_f16 v17, v19, s2, -v17
	;; [unrolled: 1-line block ×3, first 2 shown]
	v_add_co_u32_e32 v0, vcc, v2, v0
	v_add_f16_e32 v20, v23, v13
	v_fma_f16 v16, v10, s1, v16
	v_add_f16_e32 v21, v21, v14
	v_sub_f16_e32 v25, v15, v8
	v_add_f16_e32 v14, v17, v14
	v_fma_f16 v9, v10, s1, v9
	v_add_f16_e32 v8, v8, v15
	v_sub_f16_e32 v13, v13, v23
	v_add_f16_e32 v15, v31, v18
	v_addc_co_u32_e32 v1, vcc, v3, v1, vcc
	v_pack_b32_f16 v2, v11, v29
	v_sub_f16_e32 v10, v14, v9
	v_add_f16_e32 v9, v9, v14
	v_sub_f16_e32 v14, v21, v16
	global_store_dword v[0:1], v2, off
	v_pack_b32_f16 v2, v15, v13
	global_store_dword v[0:1], v2, off offset:704
	v_pack_b32_f16 v2, v8, v14
	global_store_dword v[0:1], v2, off offset:1408
	v_pack_b32_f16 v2, v12, v9
	v_add_f16_e32 v26, v16, v21
	global_store_dword v[0:1], v2, off offset:2112
	v_pack_b32_f16 v2, v7, v10
	global_store_dword v[0:1], v2, off offset:2816
	v_pack_b32_f16 v2, v25, v26
	v_sub_f16_e32 v32, v18, v31
	global_store_dword v[0:1], v2, off offset:3520
	v_add_co_u32_e32 v0, vcc, 0x1000, v0
	v_pack_b32_f16 v2, v32, v20
	v_addc_co_u32_e32 v1, vcc, 0, v1, vcc
	global_store_dword v[0:1], v2, off offset:128
.LBB0_53:
	s_endpgm
	.section	.rodata,"a",@progbits
	.p2align	6, 0x0
	.amdhsa_kernel fft_rtc_back_len1232_factors_2_2_2_2_11_7_wgs_176_tpt_176_halfLds_half_op_CI_CI_unitstride_sbrr_dirReg
		.amdhsa_group_segment_fixed_size 0
		.amdhsa_private_segment_fixed_size 0
		.amdhsa_kernarg_size 104
		.amdhsa_user_sgpr_count 6
		.amdhsa_user_sgpr_private_segment_buffer 1
		.amdhsa_user_sgpr_dispatch_ptr 0
		.amdhsa_user_sgpr_queue_ptr 0
		.amdhsa_user_sgpr_kernarg_segment_ptr 1
		.amdhsa_user_sgpr_dispatch_id 0
		.amdhsa_user_sgpr_flat_scratch_init 0
		.amdhsa_user_sgpr_private_segment_size 0
		.amdhsa_uses_dynamic_stack 0
		.amdhsa_system_sgpr_private_segment_wavefront_offset 0
		.amdhsa_system_sgpr_workgroup_id_x 1
		.amdhsa_system_sgpr_workgroup_id_y 0
		.amdhsa_system_sgpr_workgroup_id_z 0
		.amdhsa_system_sgpr_workgroup_info 0
		.amdhsa_system_vgpr_workitem_id 0
		.amdhsa_next_free_vgpr 62
		.amdhsa_next_free_sgpr 28
		.amdhsa_reserve_vcc 1
		.amdhsa_reserve_flat_scratch 0
		.amdhsa_float_round_mode_32 0
		.amdhsa_float_round_mode_16_64 0
		.amdhsa_float_denorm_mode_32 3
		.amdhsa_float_denorm_mode_16_64 3
		.amdhsa_dx10_clamp 1
		.amdhsa_ieee_mode 1
		.amdhsa_fp16_overflow 0
		.amdhsa_exception_fp_ieee_invalid_op 0
		.amdhsa_exception_fp_denorm_src 0
		.amdhsa_exception_fp_ieee_div_zero 0
		.amdhsa_exception_fp_ieee_overflow 0
		.amdhsa_exception_fp_ieee_underflow 0
		.amdhsa_exception_fp_ieee_inexact 0
		.amdhsa_exception_int_div_zero 0
	.end_amdhsa_kernel
	.text
.Lfunc_end0:
	.size	fft_rtc_back_len1232_factors_2_2_2_2_11_7_wgs_176_tpt_176_halfLds_half_op_CI_CI_unitstride_sbrr_dirReg, .Lfunc_end0-fft_rtc_back_len1232_factors_2_2_2_2_11_7_wgs_176_tpt_176_halfLds_half_op_CI_CI_unitstride_sbrr_dirReg
                                        ; -- End function
	.section	.AMDGPU.csdata,"",@progbits
; Kernel info:
; codeLenInByte = 7608
; NumSgprs: 32
; NumVgprs: 62
; ScratchSize: 0
; MemoryBound: 0
; FloatMode: 240
; IeeeMode: 1
; LDSByteSize: 0 bytes/workgroup (compile time only)
; SGPRBlocks: 3
; VGPRBlocks: 15
; NumSGPRsForWavesPerEU: 32
; NumVGPRsForWavesPerEU: 62
; Occupancy: 4
; WaveLimiterHint : 1
; COMPUTE_PGM_RSRC2:SCRATCH_EN: 0
; COMPUTE_PGM_RSRC2:USER_SGPR: 6
; COMPUTE_PGM_RSRC2:TRAP_HANDLER: 0
; COMPUTE_PGM_RSRC2:TGID_X_EN: 1
; COMPUTE_PGM_RSRC2:TGID_Y_EN: 0
; COMPUTE_PGM_RSRC2:TGID_Z_EN: 0
; COMPUTE_PGM_RSRC2:TIDIG_COMP_CNT: 0
	.type	__hip_cuid_81bdcb527cdf7c7b,@object ; @__hip_cuid_81bdcb527cdf7c7b
	.section	.bss,"aw",@nobits
	.globl	__hip_cuid_81bdcb527cdf7c7b
__hip_cuid_81bdcb527cdf7c7b:
	.byte	0                               ; 0x0
	.size	__hip_cuid_81bdcb527cdf7c7b, 1

	.ident	"AMD clang version 19.0.0git (https://github.com/RadeonOpenCompute/llvm-project roc-6.4.0 25133 c7fe45cf4b819c5991fe208aaa96edf142730f1d)"
	.section	".note.GNU-stack","",@progbits
	.addrsig
	.addrsig_sym __hip_cuid_81bdcb527cdf7c7b
	.amdgpu_metadata
---
amdhsa.kernels:
  - .args:
      - .actual_access:  read_only
        .address_space:  global
        .offset:         0
        .size:           8
        .value_kind:     global_buffer
      - .offset:         8
        .size:           8
        .value_kind:     by_value
      - .actual_access:  read_only
        .address_space:  global
        .offset:         16
        .size:           8
        .value_kind:     global_buffer
      - .actual_access:  read_only
        .address_space:  global
        .offset:         24
        .size:           8
        .value_kind:     global_buffer
      - .actual_access:  read_only
        .address_space:  global
        .offset:         32
        .size:           8
        .value_kind:     global_buffer
      - .offset:         40
        .size:           8
        .value_kind:     by_value
      - .actual_access:  read_only
        .address_space:  global
        .offset:         48
        .size:           8
        .value_kind:     global_buffer
      - .actual_access:  read_only
        .address_space:  global
        .offset:         56
        .size:           8
        .value_kind:     global_buffer
      - .offset:         64
        .size:           4
        .value_kind:     by_value
      - .actual_access:  read_only
        .address_space:  global
        .offset:         72
        .size:           8
        .value_kind:     global_buffer
      - .actual_access:  read_only
        .address_space:  global
        .offset:         80
        .size:           8
        .value_kind:     global_buffer
      - .actual_access:  read_only
        .address_space:  global
        .offset:         88
        .size:           8
        .value_kind:     global_buffer
      - .actual_access:  write_only
        .address_space:  global
        .offset:         96
        .size:           8
        .value_kind:     global_buffer
    .group_segment_fixed_size: 0
    .kernarg_segment_align: 8
    .kernarg_segment_size: 104
    .language:       OpenCL C
    .language_version:
      - 2
      - 0
    .max_flat_workgroup_size: 176
    .name:           fft_rtc_back_len1232_factors_2_2_2_2_11_7_wgs_176_tpt_176_halfLds_half_op_CI_CI_unitstride_sbrr_dirReg
    .private_segment_fixed_size: 0
    .sgpr_count:     32
    .sgpr_spill_count: 0
    .symbol:         fft_rtc_back_len1232_factors_2_2_2_2_11_7_wgs_176_tpt_176_halfLds_half_op_CI_CI_unitstride_sbrr_dirReg.kd
    .uniform_work_group_size: 1
    .uses_dynamic_stack: false
    .vgpr_count:     62
    .vgpr_spill_count: 0
    .wavefront_size: 64
amdhsa.target:   amdgcn-amd-amdhsa--gfx906
amdhsa.version:
  - 1
  - 2
...

	.end_amdgpu_metadata
